;; amdgpu-corpus repo=ROCm/rocFFT kind=compiled arch=gfx906 opt=O3
	.text
	.amdgcn_target "amdgcn-amd-amdhsa--gfx906"
	.amdhsa_code_object_version 6
	.protected	fft_rtc_back_len1568_factors_2_2_2_2_2_7_7_wgs_224_tpt_224_halfLds_half_op_CI_CI_unitstride_sbrr_dirReg ; -- Begin function fft_rtc_back_len1568_factors_2_2_2_2_2_7_7_wgs_224_tpt_224_halfLds_half_op_CI_CI_unitstride_sbrr_dirReg
	.globl	fft_rtc_back_len1568_factors_2_2_2_2_2_7_7_wgs_224_tpt_224_halfLds_half_op_CI_CI_unitstride_sbrr_dirReg
	.p2align	8
	.type	fft_rtc_back_len1568_factors_2_2_2_2_2_7_7_wgs_224_tpt_224_halfLds_half_op_CI_CI_unitstride_sbrr_dirReg,@function
fft_rtc_back_len1568_factors_2_2_2_2_2_7_7_wgs_224_tpt_224_halfLds_half_op_CI_CI_unitstride_sbrr_dirReg: ; @fft_rtc_back_len1568_factors_2_2_2_2_2_7_7_wgs_224_tpt_224_halfLds_half_op_CI_CI_unitstride_sbrr_dirReg
; %bb.0:
	s_load_dwordx4 s[8:11], s[4:5], 0x58
	s_load_dwordx4 s[12:15], s[4:5], 0x0
	;; [unrolled: 1-line block ×3, first 2 shown]
	v_mul_u32_u24_e32 v1, 0x125, v0
	v_mov_b32_e32 v8, 0
	v_mov_b32_e32 v6, 0
	s_waitcnt lgkmcnt(0)
	v_cmp_lt_u64_e64 s[0:1], s[14:15], 2
	v_add_u32_sdwa v10, s6, v1 dst_sel:DWORD dst_unused:UNUSED_PAD src0_sel:DWORD src1_sel:WORD_1
	v_mov_b32_e32 v11, v8
	s_and_b64 vcc, exec, s[0:1]
	v_mov_b32_e32 v7, 0
	s_cbranch_vccnz .LBB0_8
; %bb.1:
	s_load_dwordx2 s[0:1], s[4:5], 0x10
	s_add_u32 s2, s18, 8
	s_addc_u32 s3, s19, 0
	s_add_u32 s6, s16, 8
	s_addc_u32 s7, s17, 0
	v_mov_b32_e32 v6, 0
	s_waitcnt lgkmcnt(0)
	s_add_u32 s20, s0, 8
	v_mov_b32_e32 v7, 0
	v_mov_b32_e32 v1, v6
	s_addc_u32 s21, s1, 0
	s_mov_b64 s[22:23], 1
	v_mov_b32_e32 v2, v7
.LBB0_2:                                ; =>This Inner Loop Header: Depth=1
	s_load_dwordx2 s[24:25], s[20:21], 0x0
                                        ; implicit-def: $vgpr3_vgpr4
	s_waitcnt lgkmcnt(0)
	v_or_b32_e32 v9, s25, v11
	v_cmp_ne_u64_e32 vcc, 0, v[8:9]
	s_and_saveexec_b64 s[0:1], vcc
	s_xor_b64 s[26:27], exec, s[0:1]
	s_cbranch_execz .LBB0_4
; %bb.3:                                ;   in Loop: Header=BB0_2 Depth=1
	v_cvt_f32_u32_e32 v3, s24
	v_cvt_f32_u32_e32 v4, s25
	s_sub_u32 s0, 0, s24
	s_subb_u32 s1, 0, s25
	v_mac_f32_e32 v3, 0x4f800000, v4
	v_rcp_f32_e32 v3, v3
	v_mul_f32_e32 v3, 0x5f7ffffc, v3
	v_mul_f32_e32 v4, 0x2f800000, v3
	v_trunc_f32_e32 v4, v4
	v_mac_f32_e32 v3, 0xcf800000, v4
	v_cvt_u32_f32_e32 v4, v4
	v_cvt_u32_f32_e32 v3, v3
	v_mul_lo_u32 v5, s0, v4
	v_mul_hi_u32 v9, s0, v3
	v_mul_lo_u32 v13, s1, v3
	v_mul_lo_u32 v12, s0, v3
	v_add_u32_e32 v5, v9, v5
	v_add_u32_e32 v5, v5, v13
	v_mul_hi_u32 v9, v3, v12
	v_mul_lo_u32 v13, v3, v5
	v_mul_hi_u32 v15, v3, v5
	v_mul_hi_u32 v14, v4, v12
	v_mul_lo_u32 v12, v4, v12
	v_mul_hi_u32 v16, v4, v5
	v_add_co_u32_e32 v9, vcc, v9, v13
	v_addc_co_u32_e32 v13, vcc, 0, v15, vcc
	v_mul_lo_u32 v5, v4, v5
	v_add_co_u32_e32 v9, vcc, v9, v12
	v_addc_co_u32_e32 v9, vcc, v13, v14, vcc
	v_addc_co_u32_e32 v12, vcc, 0, v16, vcc
	v_add_co_u32_e32 v5, vcc, v9, v5
	v_addc_co_u32_e32 v9, vcc, 0, v12, vcc
	v_add_co_u32_e32 v3, vcc, v3, v5
	v_addc_co_u32_e32 v4, vcc, v4, v9, vcc
	v_mul_lo_u32 v5, s0, v4
	v_mul_hi_u32 v9, s0, v3
	v_mul_lo_u32 v12, s1, v3
	v_mul_lo_u32 v13, s0, v3
	v_add_u32_e32 v5, v9, v5
	v_add_u32_e32 v5, v5, v12
	v_mul_lo_u32 v14, v3, v5
	v_mul_hi_u32 v15, v3, v13
	v_mul_hi_u32 v16, v3, v5
	v_mul_hi_u32 v12, v4, v13
	v_mul_lo_u32 v13, v4, v13
	v_mul_hi_u32 v9, v4, v5
	v_add_co_u32_e32 v14, vcc, v15, v14
	v_addc_co_u32_e32 v15, vcc, 0, v16, vcc
	v_mul_lo_u32 v5, v4, v5
	v_add_co_u32_e32 v13, vcc, v14, v13
	v_addc_co_u32_e32 v12, vcc, v15, v12, vcc
	v_addc_co_u32_e32 v9, vcc, 0, v9, vcc
	v_add_co_u32_e32 v5, vcc, v12, v5
	v_addc_co_u32_e32 v9, vcc, 0, v9, vcc
	v_add_co_u32_e32 v5, vcc, v3, v5
	v_addc_co_u32_e32 v9, vcc, v4, v9, vcc
	v_mad_u64_u32 v[3:4], s[0:1], v10, v9, 0
	v_mul_hi_u32 v12, v10, v5
	v_add_co_u32_e32 v14, vcc, v12, v3
	v_addc_co_u32_e32 v15, vcc, 0, v4, vcc
	v_mad_u64_u32 v[3:4], s[0:1], v11, v5, 0
	v_mad_u64_u32 v[12:13], s[0:1], v11, v9, 0
	v_add_co_u32_e32 v3, vcc, v14, v3
	v_addc_co_u32_e32 v3, vcc, v15, v4, vcc
	v_addc_co_u32_e32 v4, vcc, 0, v13, vcc
	v_add_co_u32_e32 v5, vcc, v3, v12
	v_addc_co_u32_e32 v9, vcc, 0, v4, vcc
	v_mul_lo_u32 v12, s25, v5
	v_mul_lo_u32 v13, s24, v9
	v_mad_u64_u32 v[3:4], s[0:1], s24, v5, 0
	v_add3_u32 v4, v4, v13, v12
	v_sub_u32_e32 v12, v11, v4
	v_mov_b32_e32 v13, s25
	v_sub_co_u32_e32 v3, vcc, v10, v3
	v_subb_co_u32_e64 v12, s[0:1], v12, v13, vcc
	v_subrev_co_u32_e64 v13, s[0:1], s24, v3
	v_subbrev_co_u32_e64 v12, s[0:1], 0, v12, s[0:1]
	v_cmp_le_u32_e64 s[0:1], s25, v12
	v_cndmask_b32_e64 v14, 0, -1, s[0:1]
	v_cmp_le_u32_e64 s[0:1], s24, v13
	v_cndmask_b32_e64 v13, 0, -1, s[0:1]
	v_cmp_eq_u32_e64 s[0:1], s25, v12
	v_cndmask_b32_e64 v12, v14, v13, s[0:1]
	v_add_co_u32_e64 v13, s[0:1], 2, v5
	v_addc_co_u32_e64 v14, s[0:1], 0, v9, s[0:1]
	v_add_co_u32_e64 v15, s[0:1], 1, v5
	v_addc_co_u32_e64 v16, s[0:1], 0, v9, s[0:1]
	v_subb_co_u32_e32 v4, vcc, v11, v4, vcc
	v_cmp_ne_u32_e64 s[0:1], 0, v12
	v_cmp_le_u32_e32 vcc, s25, v4
	v_cndmask_b32_e64 v12, v16, v14, s[0:1]
	v_cndmask_b32_e64 v14, 0, -1, vcc
	v_cmp_le_u32_e32 vcc, s24, v3
	v_cndmask_b32_e64 v3, 0, -1, vcc
	v_cmp_eq_u32_e32 vcc, s25, v4
	v_cndmask_b32_e32 v3, v14, v3, vcc
	v_cmp_ne_u32_e32 vcc, 0, v3
	v_cndmask_b32_e64 v3, v15, v13, s[0:1]
	v_cndmask_b32_e32 v4, v9, v12, vcc
	v_cndmask_b32_e32 v3, v5, v3, vcc
.LBB0_4:                                ;   in Loop: Header=BB0_2 Depth=1
	s_andn2_saveexec_b64 s[0:1], s[26:27]
	s_cbranch_execz .LBB0_6
; %bb.5:                                ;   in Loop: Header=BB0_2 Depth=1
	v_cvt_f32_u32_e32 v3, s24
	s_sub_i32 s26, 0, s24
	v_rcp_iflag_f32_e32 v3, v3
	v_mul_f32_e32 v3, 0x4f7ffffe, v3
	v_cvt_u32_f32_e32 v3, v3
	v_mul_lo_u32 v4, s26, v3
	v_mul_hi_u32 v4, v3, v4
	v_add_u32_e32 v3, v3, v4
	v_mul_hi_u32 v3, v10, v3
	v_mul_lo_u32 v4, v3, s24
	v_add_u32_e32 v5, 1, v3
	v_sub_u32_e32 v4, v10, v4
	v_subrev_u32_e32 v9, s24, v4
	v_cmp_le_u32_e32 vcc, s24, v4
	v_cndmask_b32_e32 v4, v4, v9, vcc
	v_cndmask_b32_e32 v3, v3, v5, vcc
	v_add_u32_e32 v5, 1, v3
	v_cmp_le_u32_e32 vcc, s24, v4
	v_cndmask_b32_e32 v3, v3, v5, vcc
	v_mov_b32_e32 v4, v8
.LBB0_6:                                ;   in Loop: Header=BB0_2 Depth=1
	s_or_b64 exec, exec, s[0:1]
	v_mul_lo_u32 v5, v4, s24
	v_mul_lo_u32 v9, v3, s25
	v_mad_u64_u32 v[12:13], s[0:1], v3, s24, 0
	s_load_dwordx2 s[0:1], s[6:7], 0x0
	s_load_dwordx2 s[24:25], s[2:3], 0x0
	v_add3_u32 v5, v13, v9, v5
	v_sub_co_u32_e32 v9, vcc, v10, v12
	v_subb_co_u32_e32 v5, vcc, v11, v5, vcc
	s_waitcnt lgkmcnt(0)
	v_mul_lo_u32 v10, s0, v5
	v_mul_lo_u32 v11, s1, v9
	v_mad_u64_u32 v[6:7], s[0:1], s0, v9, v[6:7]
	s_add_u32 s22, s22, 1
	s_addc_u32 s23, s23, 0
	s_add_u32 s2, s2, 8
	v_mul_lo_u32 v5, s24, v5
	v_mul_lo_u32 v12, s25, v9
	v_mad_u64_u32 v[1:2], s[0:1], s24, v9, v[1:2]
	v_add3_u32 v7, v11, v7, v10
	s_addc_u32 s3, s3, 0
	v_mov_b32_e32 v9, s14
	s_add_u32 s6, s6, 8
	v_mov_b32_e32 v10, s15
	s_addc_u32 s7, s7, 0
	v_cmp_ge_u64_e32 vcc, s[22:23], v[9:10]
	s_add_u32 s20, s20, 8
	v_add3_u32 v2, v12, v2, v5
	s_addc_u32 s21, s21, 0
	s_cbranch_vccnz .LBB0_9
; %bb.7:                                ;   in Loop: Header=BB0_2 Depth=1
	v_mov_b32_e32 v11, v4
	v_mov_b32_e32 v10, v3
	s_branch .LBB0_2
.LBB0_8:
	v_mov_b32_e32 v1, v6
	v_mov_b32_e32 v3, v10
	;; [unrolled: 1-line block ×4, first 2 shown]
.LBB0_9:
	s_load_dwordx2 s[4:5], s[4:5], 0x28
	s_lshl_b64 s[6:7], s[14:15], 3
	s_add_u32 s2, s18, s6
	s_addc_u32 s3, s19, s7
                                        ; implicit-def: $sgpr14
                                        ; implicit-def: $vgpr8
	s_waitcnt lgkmcnt(0)
	v_cmp_gt_u64_e64 s[0:1], s[4:5], v[3:4]
	v_cmp_le_u64_e32 vcc, s[4:5], v[3:4]
	s_and_saveexec_b64 s[4:5], vcc
	s_xor_b64 s[4:5], exec, s[4:5]
; %bb.10:
	s_mov_b32 s14, 0x124924a
	v_mul_hi_u32 v5, v0, s14
	s_mov_b32 s14, 0
                                        ; implicit-def: $vgpr6_vgpr7
	v_mul_u32_u24_e32 v5, 0xe0, v5
	v_sub_u32_e32 v8, v0, v5
                                        ; implicit-def: $vgpr0
; %bb.11:
	s_or_saveexec_b64 s[4:5], s[4:5]
	s_load_dwordx2 s[2:3], s[2:3], 0x0
	v_mov_b32_e32 v5, s14
                                        ; implicit-def: $vgpr12
                                        ; implicit-def: $vgpr9
                                        ; implicit-def: $vgpr19
                                        ; implicit-def: $vgpr15
                                        ; implicit-def: $vgpr21
                                        ; implicit-def: $vgpr13
                                        ; implicit-def: $vgpr22
                                        ; implicit-def: $vgpr14
                                        ; implicit-def: $vgpr23
                                        ; implicit-def: $vgpr16
                                        ; implicit-def: $vgpr24
                                        ; implicit-def: $vgpr17
                                        ; implicit-def: $vgpr10
                                        ; implicit-def: $vgpr18
                                        ; implicit-def: $vgpr11
                                        ; implicit-def: $vgpr20
	s_xor_b64 exec, exec, s[4:5]
	s_cbranch_execz .LBB0_15
; %bb.12:
	s_add_u32 s6, s16, s6
	s_addc_u32 s7, s17, s7
	s_load_dwordx2 s[6:7], s[6:7], 0x0
	s_mov_b32 s14, 0x124924a
	v_mul_hi_u32 v5, v0, s14
                                        ; implicit-def: $vgpr20
                                        ; implicit-def: $vgpr18
	s_waitcnt lgkmcnt(0)
	v_mul_lo_u32 v11, s7, v3
	v_mul_lo_u32 v12, s6, v4
	v_mad_u64_u32 v[9:10], s[6:7], s6, v3, 0
	v_mul_u32_u24_e32 v5, 0xe0, v5
	v_sub_u32_e32 v8, v0, v5
	v_add3_u32 v10, v10, v12, v11
	v_lshlrev_b64 v[9:10], 2, v[9:10]
	v_mov_b32_e32 v0, s9
	v_add_co_u32_e32 v9, vcc, s8, v9
	v_lshlrev_b64 v[5:6], 2, v[6:7]
	v_addc_co_u32_e32 v0, vcc, v0, v10, vcc
	v_add_co_u32_e32 v5, vcc, v9, v5
	v_addc_co_u32_e32 v0, vcc, v0, v6, vcc
	v_lshlrev_b32_e32 v6, 2, v8
	v_add_co_u32_e32 v5, vcc, v5, v6
	v_addc_co_u32_e32 v6, vcc, 0, v0, vcc
	v_add_co_u32_e32 v10, vcc, 0x1000, v5
	global_load_dword v9, v[5:6], off
	global_load_dword v13, v[5:6], off offset:896
	v_addc_co_u32_e32 v11, vcc, 0, v6, vcc
	global_load_dword v14, v[5:6], off offset:4032
	global_load_dword v17, v[10:11], off offset:832
	global_load_dword v15, v[5:6], off offset:3136
	global_load_dword v16, v[5:6], off offset:1792
	s_movk_i32 s6, 0x70
	v_cmp_gt_u32_e32 vcc, s6, v8
                                        ; implicit-def: $vgpr11
                                        ; implicit-def: $vgpr10
	s_and_saveexec_b64 s[6:7], vcc
	s_cbranch_execz .LBB0_14
; %bb.13:
	v_add_co_u32_e32 v10, vcc, 0x1000, v5
	v_addc_co_u32_e32 v11, vcc, 0, v6, vcc
	global_load_dword v18, v[5:6], off offset:2688
	global_load_dword v20, v[10:11], off offset:1728
	s_waitcnt vmcnt(1)
	v_lshrrev_b32_e32 v10, 16, v18
	s_waitcnt vmcnt(0)
	v_lshrrev_b32_e32 v11, 16, v20
.LBB0_14:
	s_or_b64 exec, exec, s[6:7]
	s_waitcnt vmcnt(5)
	v_lshrrev_b32_e32 v12, 16, v9
	s_waitcnt vmcnt(1)
	v_lshrrev_b32_e32 v19, 16, v15
	v_lshrrev_b32_e32 v21, 16, v13
	;; [unrolled: 1-line block ×3, first 2 shown]
	s_waitcnt vmcnt(0)
	v_lshrrev_b32_e32 v23, 16, v16
	v_lshrrev_b32_e32 v24, 16, v17
	v_mov_b32_e32 v5, v8
.LBB0_15:
	s_or_b64 exec, exec, s[4:5]
	v_sub_f16_e32 v0, v9, v15
	v_fma_f16 v15, v9, 2.0, -v0
	v_sub_f16_e32 v14, v13, v14
	v_fma_f16 v13, v13, 2.0, -v14
	v_sub_f16_e32 v17, v16, v17
	v_lshl_add_u32 v25, v8, 2, 0
	v_pack_b32_f16 v0, v15, v0
	v_add_u32_e32 v26, 0xe0, v8
	v_fma_f16 v16, v16, 2.0, -v17
	v_sub_f16_e32 v6, v18, v20
	ds_write_b32 v25, v0
	v_lshl_add_u32 v29, v26, 2, 0
	v_pack_b32_f16 v0, v13, v14
	v_add_u32_e32 v28, 0x1c0, v8
	v_add_u32_e32 v14, 0x2a0, v8
	s_movk_i32 s4, 0x70
	v_fma_f16 v9, v18, 2.0, -v6
	v_lshlrev_b32_e32 v7, 1, v8
	ds_write_b32 v29, v0
	v_lshl_add_u32 v30, v28, 2, 0
	v_pack_b32_f16 v0, v16, v17
	v_cmp_gt_u32_e32 vcc, s4, v8
	v_lshl_add_u32 v27, v14, 2, 0
	ds_write_b32 v30, v0
	s_and_saveexec_b64 s[4:5], vcc
	s_cbranch_execz .LBB0_17
; %bb.16:
	s_mov_b32 s6, 0x5040100
	v_perm_b32 v0, v6, v9, s6
	ds_write_b32 v27, v0
.LBB0_17:
	s_or_b64 exec, exec, s[4:5]
	v_sub_u32_e32 v0, v25, v7
	s_waitcnt lgkmcnt(0)
	s_barrier
	ds_read_u16 v15, v0
	ds_read_u16 v18, v0 offset:448
	ds_read_u16 v13, v0 offset:2016
	;; [unrolled: 1-line block ×5, first 2 shown]
	s_and_saveexec_b64 s[4:5], vcc
	s_cbranch_execz .LBB0_19
; %bb.18:
	ds_read_u16 v9, v0 offset:1344
	ds_read_u16 v6, v0 offset:2912
.LBB0_19:
	s_or_b64 exec, exec, s[4:5]
	v_sub_f16_e32 v31, v12, v19
	v_sub_f16_e32 v22, v21, v22
	v_fma_f16 v12, v12, 2.0, -v31
	v_fma_f16 v32, v21, 2.0, -v22
	v_sub_f16_e32 v21, v10, v11
	v_sub_f16_e32 v24, v23, v24
	v_fma_f16 v19, v10, 2.0, -v21
	v_pack_b32_f16 v10, v12, v31
	v_fma_f16 v23, v23, 2.0, -v24
	s_waitcnt lgkmcnt(0)
	s_barrier
	ds_write_b32 v25, v10
	v_pack_b32_f16 v10, v32, v22
	ds_write_b32 v29, v10
	v_pack_b32_f16 v10, v23, v24
	ds_write_b32 v30, v10
	s_and_saveexec_b64 s[4:5], vcc
	s_cbranch_execz .LBB0_21
; %bb.20:
	s_mov_b32 s6, 0x5040100
	v_perm_b32 v10, v21, v19, s6
	ds_write_b32 v27, v10
.LBB0_21:
	s_or_b64 exec, exec, s[4:5]
	s_waitcnt lgkmcnt(0)
	s_barrier
	ds_read_u16 v22, v0
	ds_read_u16 v25, v0 offset:448
	ds_read_u16 v29, v0 offset:2016
	;; [unrolled: 1-line block ×5, first 2 shown]
	v_lshlrev_b32_e32 v10, 1, v26
	v_lshlrev_b32_e32 v11, 1, v28
	s_and_saveexec_b64 s[4:5], vcc
	s_cbranch_execz .LBB0_23
; %bb.22:
	ds_read_u16 v19, v0 offset:1344
	ds_read_u16 v21, v0 offset:2912
.LBB0_23:
	s_or_b64 exec, exec, s[4:5]
	v_and_b32_e32 v28, 1, v8
	v_lshlrev_b32_e32 v12, 2, v28
	global_load_dword v32, v12, s[12:13]
	s_movk_i32 s4, 0x1fc
	s_movk_i32 s6, 0x7fc
	;; [unrolled: 1-line block ×3, first 2 shown]
	v_and_or_b32 v12, v7, s4, v28
	v_and_or_b32 v24, v11, s6, v28
	;; [unrolled: 1-line block ×3, first 2 shown]
	v_lshl_add_u32 v35, v12, 1, 0
	v_lshl_add_u32 v33, v24, 1, 0
	;; [unrolled: 1-line block ×3, first 2 shown]
	s_waitcnt vmcnt(0) lgkmcnt(0)
	s_barrier
	v_mul_f16_sdwa v12, v31, v32 dst_sel:DWORD dst_unused:UNUSED_PAD src0_sel:DWORD src1_sel:WORD_1
	v_mul_f16_sdwa v24, v30, v32 dst_sel:DWORD dst_unused:UNUSED_PAD src0_sel:DWORD src1_sel:WORD_1
	;; [unrolled: 1-line block ×4, first 2 shown]
	v_fma_f16 v12, v17, v32, v12
	v_fma_f16 v24, v16, v32, v24
	;; [unrolled: 1-line block ×4, first 2 shown]
	v_sub_f16_e32 v36, v15, v12
	v_sub_f16_e32 v24, v20, v24
	;; [unrolled: 1-line block ×4, first 2 shown]
	v_fma_f16 v26, v20, 2.0, -v24
	v_fma_f16 v20, v9, 2.0, -v12
	v_lshlrev_b32_e32 v9, 1, v14
	v_fma_f16 v15, v15, 2.0, -v36
	v_fma_f16 v18, v18, 2.0, -v23
	ds_write_b16 v35, v36 offset:4
	ds_write_b16 v35, v15
	ds_write_b16 v34, v18
	ds_write_b16 v34, v23 offset:4
	ds_write_b16 v33, v26
	ds_write_b16 v33, v24 offset:4
	s_and_saveexec_b64 s[4:5], vcc
	s_cbranch_execz .LBB0_25
; %bb.24:
	v_and_or_b32 v14, v9, s6, v28
	v_lshl_add_u32 v14, v14, 1, 0
	ds_write_b16 v14, v20
	ds_write_b16 v14, v12 offset:4
.LBB0_25:
	s_or_b64 exec, exec, s[4:5]
	s_waitcnt lgkmcnt(0)
	s_barrier
	ds_read_u16 v23, v0
	ds_read_u16 v24, v0 offset:448
	ds_read_u16 v14, v0 offset:2016
	;; [unrolled: 1-line block ×5, first 2 shown]
	s_and_saveexec_b64 s[4:5], vcc
	s_cbranch_execz .LBB0_27
; %bb.26:
	ds_read_u16 v20, v0 offset:1344
	ds_read_u16 v12, v0 offset:2912
.LBB0_27:
	s_or_b64 exec, exec, s[4:5]
	v_mul_f16_sdwa v17, v17, v32 dst_sel:DWORD dst_unused:UNUSED_PAD src0_sel:DWORD src1_sel:WORD_1
	v_fma_f16 v17, v31, v32, -v17
	v_mul_f16_sdwa v6, v6, v32 dst_sel:DWORD dst_unused:UNUSED_PAD src0_sel:DWORD src1_sel:WORD_1
	v_mul_f16_sdwa v13, v13, v32 dst_sel:DWORD dst_unused:UNUSED_PAD src0_sel:DWORD src1_sel:WORD_1
	;; [unrolled: 1-line block ×3, first 2 shown]
	v_fma_f16 v6, v21, v32, -v6
	v_sub_f16_e32 v17, v22, v17
	v_fma_f16 v13, v29, v32, -v13
	v_fma_f16 v16, v30, v32, -v16
	v_fma_f16 v29, v22, 2.0, -v17
	v_sub_f16_e32 v22, v19, v6
	v_sub_f16_e32 v13, v25, v13
	;; [unrolled: 1-line block ×3, first 2 shown]
	v_fma_f16 v21, v19, 2.0, -v22
	v_fma_f16 v25, v25, 2.0, -v13
	;; [unrolled: 1-line block ×3, first 2 shown]
	s_waitcnt lgkmcnt(0)
	s_barrier
	ds_write_b16 v35, v29
	ds_write_b16 v35, v17 offset:4
	ds_write_b16 v34, v25
	ds_write_b16 v34, v13 offset:4
	;; [unrolled: 2-line block ×3, first 2 shown]
	s_and_saveexec_b64 s[4:5], vcc
	s_cbranch_execz .LBB0_29
; %bb.28:
	v_and_or_b32 v6, v9, s6, v28
	v_lshl_add_u32 v6, v6, 1, 0
	ds_write_b16 v6, v21
	ds_write_b16 v6, v22 offset:4
.LBB0_29:
	s_or_b64 exec, exec, s[4:5]
	s_waitcnt lgkmcnt(0)
	s_barrier
	ds_read_u16 v27, v0
	ds_read_u16 v28, v0 offset:448
	ds_read_u16 v31, v0 offset:2016
	;; [unrolled: 1-line block ×5, first 2 shown]
	s_and_saveexec_b64 s[4:5], vcc
	s_cbranch_execz .LBB0_31
; %bb.30:
	ds_read_u16 v21, v0 offset:1344
	ds_read_u16 v22, v0 offset:2912
.LBB0_31:
	s_or_b64 exec, exec, s[4:5]
	v_and_b32_e32 v29, 3, v8
	v_lshlrev_b32_e32 v6, 2, v29
	global_load_dword v34, v6, s[12:13] offset:8
	s_movk_i32 s5, 0x3f8
	s_movk_i32 s4, 0x1f8
	;; [unrolled: 1-line block ×3, first 2 shown]
	v_and_or_b32 v13, v10, s5, v29
	v_and_or_b32 v6, v7, s4, v29
	;; [unrolled: 1-line block ×3, first 2 shown]
	v_lshl_add_u32 v36, v13, 1, 0
	v_lshl_add_u32 v37, v6, 1, 0
	;; [unrolled: 1-line block ×3, first 2 shown]
	s_waitcnt vmcnt(0) lgkmcnt(0)
	s_barrier
	v_mul_f16_sdwa v13, v31, v34 dst_sel:DWORD dst_unused:UNUSED_PAD src0_sel:DWORD src1_sel:WORD_1
	v_mul_f16_sdwa v17, v22, v34 dst_sel:DWORD dst_unused:UNUSED_PAD src0_sel:DWORD src1_sel:WORD_1
	;; [unrolled: 1-line block ×4, first 2 shown]
	v_fma_f16 v13, v14, v34, v13
	v_fma_f16 v17, v12, v34, v17
	;; [unrolled: 1-line block ×4, first 2 shown]
	v_sub_f16_e32 v19, v24, v13
	v_sub_f16_e32 v13, v20, v17
	;; [unrolled: 1-line block ×4, first 2 shown]
	v_fma_f16 v20, v20, 2.0, -v13
	v_fma_f16 v17, v23, 2.0, -v6
	;; [unrolled: 1-line block ×4, first 2 shown]
	ds_write_b16 v37, v6 offset:8
	ds_write_b16 v37, v17
	ds_write_b16 v36, v23
	ds_write_b16 v36, v19 offset:8
	ds_write_b16 v35, v24
	ds_write_b16 v35, v16 offset:8
	s_and_saveexec_b64 s[4:5], vcc
	s_cbranch_execz .LBB0_33
; %bb.32:
	v_and_or_b32 v6, v9, s6, v29
	v_lshl_add_u32 v6, v6, 1, 0
	ds_write_b16 v6, v20
	ds_write_b16 v6, v13 offset:8
.LBB0_33:
	s_or_b64 exec, exec, s[4:5]
	s_waitcnt lgkmcnt(0)
	s_barrier
	ds_read_u16 v23, v0
	ds_read_u16 v24, v0 offset:448
	ds_read_u16 v16, v0 offset:2016
	;; [unrolled: 1-line block ×5, first 2 shown]
	v_lshl_add_u32 v6, v8, 1, 0
	s_and_saveexec_b64 s[4:5], vcc
	s_cbranch_execz .LBB0_35
; %bb.34:
	ds_read_u16 v20, v6 offset:1344
	ds_read_u16 v13, v0 offset:2912
.LBB0_35:
	s_or_b64 exec, exec, s[4:5]
	v_mul_f16_sdwa v18, v18, v34 dst_sel:DWORD dst_unused:UNUSED_PAD src0_sel:DWORD src1_sel:WORD_1
	v_mul_f16_sdwa v14, v14, v34 dst_sel:DWORD dst_unused:UNUSED_PAD src0_sel:DWORD src1_sel:WORD_1
	;; [unrolled: 1-line block ×3, first 2 shown]
	v_fma_f16 v18, v33, v34, -v18
	v_fma_f16 v14, v31, v34, -v14
	v_mul_f16_sdwa v15, v15, v34 dst_sel:DWORD dst_unused:UNUSED_PAD src0_sel:DWORD src1_sel:WORD_1
	v_fma_f16 v12, v22, v34, -v12
	v_fma_f16 v15, v32, v34, -v15
	v_sub_f16_e32 v18, v27, v18
	v_sub_f16_e32 v14, v28, v14
	;; [unrolled: 1-line block ×3, first 2 shown]
	v_fma_f16 v26, v27, 2.0, -v18
	v_fma_f16 v27, v28, 2.0, -v14
	v_sub_f16_e32 v28, v30, v15
	v_fma_f16 v15, v21, 2.0, -v22
	v_fma_f16 v30, v30, 2.0, -v28
	s_waitcnt lgkmcnt(0)
	s_barrier
	ds_write_b16 v37, v26
	ds_write_b16 v37, v18 offset:8
	ds_write_b16 v36, v27
	ds_write_b16 v36, v14 offset:8
	;; [unrolled: 2-line block ×3, first 2 shown]
	s_and_saveexec_b64 s[4:5], vcc
	s_cbranch_execz .LBB0_37
; %bb.36:
	v_and_or_b32 v12, v9, s6, v29
	v_lshl_add_u32 v12, v12, 1, 0
	ds_write_b16 v12, v15
	ds_write_b16 v12, v22 offset:8
.LBB0_37:
	s_or_b64 exec, exec, s[4:5]
	s_waitcnt lgkmcnt(0)
	s_barrier
	ds_read_u16 v26, v0
	ds_read_u16 v27, v0 offset:448
	ds_read_u16 v30, v0 offset:2016
	;; [unrolled: 1-line block ×5, first 2 shown]
	s_and_saveexec_b64 s[4:5], vcc
	s_cbranch_execz .LBB0_39
; %bb.38:
	ds_read_u16 v15, v6 offset:1344
	ds_read_u16 v22, v0 offset:2912
.LBB0_39:
	s_or_b64 exec, exec, s[4:5]
	v_and_b32_e32 v28, 7, v8
	v_lshlrev_b32_e32 v12, 2, v28
	global_load_dword v33, v12, s[12:13] offset:24
	s_movk_i32 s4, 0x1f0
	s_movk_i32 s5, 0x3f0
	;; [unrolled: 1-line block ×3, first 2 shown]
	v_and_or_b32 v12, v7, s4, v28
	v_and_or_b32 v14, v10, s5, v28
	;; [unrolled: 1-line block ×3, first 2 shown]
	v_lshl_add_u32 v36, v12, 1, 0
	v_lshl_add_u32 v35, v14, 1, 0
	;; [unrolled: 1-line block ×3, first 2 shown]
	s_waitcnt vmcnt(0) lgkmcnt(0)
	s_barrier
	v_mul_f16_sdwa v12, v32, v33 dst_sel:DWORD dst_unused:UNUSED_PAD src0_sel:DWORD src1_sel:WORD_1
	v_mul_f16_sdwa v21, v22, v33 dst_sel:DWORD dst_unused:UNUSED_PAD src0_sel:DWORD src1_sel:WORD_1
	;; [unrolled: 1-line block ×4, first 2 shown]
	v_fma_f16 v12, v19, v33, v12
	v_fma_f16 v21, v13, v33, v21
	;; [unrolled: 1-line block ×4, first 2 shown]
	v_sub_f16_e32 v37, v23, v12
	v_sub_f16_e32 v12, v20, v21
	;; [unrolled: 1-line block ×4, first 2 shown]
	v_fma_f16 v14, v20, 2.0, -v12
	v_fma_f16 v21, v23, 2.0, -v37
	;; [unrolled: 1-line block ×4, first 2 shown]
	ds_write_b16 v36, v37 offset:16
	ds_write_b16 v36, v21
	ds_write_b16 v35, v23
	ds_write_b16 v35, v38 offset:16
	ds_write_b16 v34, v24
	ds_write_b16 v34, v18 offset:16
	s_and_saveexec_b64 s[4:5], vcc
	s_cbranch_execz .LBB0_41
; %bb.40:
	v_and_or_b32 v18, v9, s6, v28
	v_lshl_add_u32 v18, v18, 1, 0
	ds_write_b16 v18, v14
	ds_write_b16 v18, v12 offset:16
.LBB0_41:
	s_or_b64 exec, exec, s[4:5]
	s_waitcnt lgkmcnt(0)
	s_barrier
	ds_read_u16 v23, v0
	ds_read_u16 v24, v0 offset:448
	ds_read_u16 v18, v0 offset:2016
	;; [unrolled: 1-line block ×5, first 2 shown]
	s_and_saveexec_b64 s[4:5], vcc
	s_cbranch_execz .LBB0_43
; %bb.42:
	ds_read_u16 v14, v6 offset:1344
	ds_read_u16 v12, v0 offset:2912
.LBB0_43:
	s_or_b64 exec, exec, s[4:5]
	v_mul_f16_sdwa v19, v19, v33 dst_sel:DWORD dst_unused:UNUSED_PAD src0_sel:DWORD src1_sel:WORD_1
	v_fma_f16 v19, v32, v33, -v19
	v_mul_f16_sdwa v16, v16, v33 dst_sel:DWORD dst_unused:UNUSED_PAD src0_sel:DWORD src1_sel:WORD_1
	v_mul_f16_sdwa v13, v13, v33 dst_sel:DWORD dst_unused:UNUSED_PAD src0_sel:DWORD src1_sel:WORD_1
	v_fma_f16 v16, v30, v33, -v16
	v_mul_f16_sdwa v17, v17, v33 dst_sel:DWORD dst_unused:UNUSED_PAD src0_sel:DWORD src1_sel:WORD_1
	v_fma_f16 v13, v22, v33, -v13
	v_sub_f16_e32 v19, v26, v19
	v_fma_f16 v17, v31, v33, -v17
	v_fma_f16 v22, v26, 2.0, -v19
	v_sub_f16_e32 v26, v27, v16
	v_sub_f16_e32 v16, v15, v13
	;; [unrolled: 1-line block ×3, first 2 shown]
	v_fma_f16 v13, v15, 2.0, -v16
	v_fma_f16 v27, v27, 2.0, -v26
	;; [unrolled: 1-line block ×3, first 2 shown]
	s_waitcnt lgkmcnt(0)
	s_barrier
	ds_write_b16 v36, v22
	ds_write_b16 v36, v19 offset:16
	ds_write_b16 v35, v27
	ds_write_b16 v35, v26 offset:16
	;; [unrolled: 2-line block ×3, first 2 shown]
	s_and_saveexec_b64 s[4:5], vcc
	s_cbranch_execz .LBB0_45
; %bb.44:
	v_and_or_b32 v15, v9, s6, v28
	v_lshl_add_u32 v15, v15, 1, 0
	ds_write_b16 v15, v13
	ds_write_b16 v15, v16 offset:16
.LBB0_45:
	s_or_b64 exec, exec, s[4:5]
	s_waitcnt lgkmcnt(0)
	s_barrier
	ds_read_u16 v15, v0
	ds_read_u16 v17, v0 offset:448
	ds_read_u16 v27, v0 offset:2016
	;; [unrolled: 1-line block ×5, first 2 shown]
	s_and_saveexec_b64 s[4:5], vcc
	s_cbranch_execz .LBB0_47
; %bb.46:
	ds_read_u16 v13, v6 offset:1344
	ds_read_u16 v16, v0 offset:2912
.LBB0_47:
	s_or_b64 exec, exec, s[4:5]
	v_and_b32_e32 v19, 15, v8
	v_lshlrev_b32_e32 v22, 2, v19
	global_load_dword v22, v22, s[12:13] offset:56
	s_movk_i32 s4, 0x1e0
	s_movk_i32 s5, 0x3e0
	;; [unrolled: 1-line block ×3, first 2 shown]
	v_and_or_b32 v7, v7, s4, v19
	v_and_or_b32 v10, v10, s5, v19
	v_and_or_b32 v11, v11, s6, v19
	v_lshl_add_u32 v32, v7, 1, 0
	v_lshl_add_u32 v31, v10, 1, 0
	;; [unrolled: 1-line block ×3, first 2 shown]
	s_waitcnt vmcnt(0) lgkmcnt(0)
	s_barrier
	v_mul_f16_sdwa v7, v29, v22 dst_sel:DWORD dst_unused:UNUSED_PAD src0_sel:DWORD src1_sel:WORD_1
	v_mul_f16_sdwa v10, v27, v22 dst_sel:DWORD dst_unused:UNUSED_PAD src0_sel:DWORD src1_sel:WORD_1
	;; [unrolled: 1-line block ×3, first 2 shown]
	v_fma_f16 v7, v21, v22, v7
	v_fma_f16 v10, v18, v22, v10
	;; [unrolled: 1-line block ×3, first 2 shown]
	v_sub_f16_e32 v7, v23, v7
	v_sub_f16_e32 v10, v24, v10
	;; [unrolled: 1-line block ×3, first 2 shown]
	v_fma_f16 v23, v23, 2.0, -v7
	v_fma_f16 v24, v24, 2.0, -v10
	;; [unrolled: 1-line block ×3, first 2 shown]
	ds_write_b16 v32, v7 offset:32
	ds_write_b16 v32, v23
	ds_write_b16 v31, v24
	ds_write_b16 v31, v10 offset:32
	ds_write_b16 v30, v25
	ds_write_b16 v30, v11 offset:32
	s_and_saveexec_b64 s[4:5], vcc
	s_cbranch_execz .LBB0_49
; %bb.48:
	v_mul_f16_sdwa v7, v16, v22 dst_sel:DWORD dst_unused:UNUSED_PAD src0_sel:DWORD src1_sel:WORD_1
	v_fma_f16 v7, v12, v22, v7
	v_sub_f16_e32 v7, v14, v7
	v_and_or_b32 v11, v9, s6, v19
	v_fma_f16 v10, v14, 2.0, -v7
	v_lshl_add_u32 v11, v11, 1, 0
	ds_write_b16 v11, v10
	ds_write_b16 v11, v7 offset:32
.LBB0_49:
	s_or_b64 exec, exec, s[4:5]
	v_mul_f16_sdwa v7, v21, v22 dst_sel:DWORD dst_unused:UNUSED_PAD src0_sel:DWORD src1_sel:WORD_1
	v_mul_f16_sdwa v10, v18, v22 dst_sel:DWORD dst_unused:UNUSED_PAD src0_sel:DWORD src1_sel:WORD_1
	v_fma_f16 v7, v29, v22, -v7
	v_fma_f16 v10, v27, v22, -v10
	v_mul_f16_sdwa v11, v20, v22 dst_sel:DWORD dst_unused:UNUSED_PAD src0_sel:DWORD src1_sel:WORD_1
	v_fma_f16 v11, v28, v22, -v11
	v_sub_f16_e32 v20, v15, v7
	v_sub_f16_e32 v23, v17, v10
	v_fma_f16 v21, v15, 2.0, -v20
	v_fma_f16 v24, v17, 2.0, -v23
	v_sub_f16_e32 v25, v26, v11
	s_waitcnt lgkmcnt(0)
	s_barrier
	ds_read_u16 v7, v0
	ds_read_u16 v17, v0 offset:448
	ds_read_u16 v15, v0 offset:896
	;; [unrolled: 1-line block ×6, first 2 shown]
	v_fma_f16 v26, v26, 2.0, -v25
	s_waitcnt lgkmcnt(0)
	s_barrier
	ds_write_b16 v32, v21
	ds_write_b16 v32, v20 offset:32
	ds_write_b16 v31, v24
	ds_write_b16 v31, v23 offset:32
	;; [unrolled: 2-line block ×3, first 2 shown]
	s_and_saveexec_b64 s[4:5], vcc
	s_cbranch_execz .LBB0_51
; %bb.50:
	v_mul_f16_sdwa v12, v12, v22 dst_sel:DWORD dst_unused:UNUSED_PAD src0_sel:DWORD src1_sel:WORD_1
	v_fma_f16 v12, v16, v22, -v12
	v_sub_f16_e32 v12, v13, v12
	v_and_or_b32 v9, v9, s6, v19
	v_fma_f16 v13, v13, 2.0, -v12
	v_lshl_add_u32 v9, v9, 1, 0
	ds_write_b16 v9, v13
	ds_write_b16 v9, v12 offset:32
.LBB0_51:
	s_or_b64 exec, exec, s[4:5]
	v_and_b32_e32 v9, 31, v8
	v_mul_u32_u24_e32 v12, 6, v9
	v_lshlrev_b32_e32 v16, 2, v12
	s_waitcnt lgkmcnt(0)
	s_barrier
	global_load_dwordx4 v[19:22], v16, s[12:13] offset:120
	global_load_dwordx2 v[12:13], v16, s[12:13] offset:136
	ds_read_u16 v16, v6 offset:1344
	ds_read_u16 v23, v0
	ds_read_u16 v24, v0 offset:448
	ds_read_u16 v25, v0 offset:896
	;; [unrolled: 1-line block ×5, first 2 shown]
	s_movk_i32 s8, 0x2b26
	s_mov_b32 s4, 0xbb00
	s_mov_b32 s7, 0xbcab
	s_movk_i32 s5, 0x39e0
	s_mov_b32 s15, 0xb574
	s_movk_i32 s9, 0x3574
	s_mov_b32 s14, 0xb70e
	s_waitcnt vmcnt(0) lgkmcnt(0)
	s_barrier
	s_movk_i32 s6, 0x3a52
	v_mul_f16_sdwa v29, v24, v19 dst_sel:DWORD dst_unused:UNUSED_PAD src0_sel:DWORD src1_sel:WORD_1
	v_mul_f16_sdwa v30, v17, v19 dst_sel:DWORD dst_unused:UNUSED_PAD src0_sel:DWORD src1_sel:WORD_1
	;; [unrolled: 1-line block ×12, first 2 shown]
	v_fma_f16 v17, v17, v19, v29
	v_fma_f16 v19, v24, v19, -v30
	v_fma_f16 v15, v15, v20, v31
	v_fma_f16 v20, v25, v20, -v32
	;; [unrolled: 2-line block ×6, first 2 shown]
	v_add_f16_e32 v22, v17, v11
	v_add_f16_e32 v24, v19, v13
	v_sub_f16_e32 v11, v17, v11
	v_sub_f16_e32 v13, v19, v13
	v_add_f16_e32 v17, v15, v10
	v_add_f16_e32 v19, v20, v12
	v_sub_f16_e32 v10, v15, v10
	v_sub_f16_e32 v12, v20, v12
	;; [unrolled: 4-line block ×4, first 2 shown]
	v_sub_f16_e32 v22, v22, v15
	v_sub_f16_e32 v24, v24, v20
	v_sub_f16_e32 v17, v15, v17
	v_sub_f16_e32 v19, v20, v19
	v_add_f16_e32 v27, v14, v10
	v_add_f16_e32 v28, v16, v12
	v_sub_f16_e32 v29, v14, v10
	v_sub_f16_e32 v30, v16, v12
	;; [unrolled: 1-line block ×3, first 2 shown]
	v_add_f16_e32 v15, v15, v18
	v_add_f16_e32 v18, v20, v21
	v_mul_f16_e32 v20, 0x3a52, v22
	v_mul_f16_e32 v21, 0x3a52, v24
	v_sub_f16_e32 v14, v11, v14
	v_sub_f16_e32 v16, v13, v16
	;; [unrolled: 1-line block ×3, first 2 shown]
	v_add_f16_e32 v11, v27, v11
	v_add_f16_e32 v13, v28, v13
	v_mul_f16_e32 v22, 0x2b26, v17
	v_mul_f16_e32 v24, 0x2b26, v19
	;; [unrolled: 1-line block ×5, first 2 shown]
	v_add_f16_e32 v7, v7, v15
	v_add_f16_e32 v23, v23, v18
	v_fma_f16 v17, v17, s8, v20
	v_fma_f16 v19, v19, s8, v21
	s_mov_b32 s8, 0xb9e0
	v_mul_f16_e32 v29, 0xbb00, v10
	v_fma_f16 v15, v15, s7, v7
	v_fma_f16 v18, v18, s7, v23
	v_fma_f16 v22, v25, s5, -v22
	v_fma_f16 v24, v26, s5, -v24
	;; [unrolled: 1-line block ×4, first 2 shown]
	v_fma_f16 v26, v16, s15, v28
	v_fma_f16 v10, v10, s4, -v27
	v_fma_f16 v12, v12, s4, -v28
	;; [unrolled: 1-line block ×3, first 2 shown]
	v_fma_f16 v25, v14, s15, v27
	v_add_f16_e32 v17, v17, v15
	v_add_f16_e32 v19, v19, v18
	;; [unrolled: 1-line block ×6, first 2 shown]
	v_fma_f16 v21, v13, s14, v26
	v_fma_f16 v10, v11, s14, v10
	;; [unrolled: 1-line block ×5, first 2 shown]
	v_add_f16_e32 v25, v13, v15
	v_sub_f16_e32 v27, v22, v12
	v_add_f16_e32 v28, v10, v24
	v_add_f16_e32 v12, v12, v22
	v_sub_f16_e32 v22, v24, v10
	v_sub_f16_e32 v10, v15, v13
	v_lshrrev_b32_e32 v13, 5, v8
	v_fma_f16 v14, v14, s9, -v29
	v_mul_u32_u24_e32 v13, 0xe0, v13
	v_fma_f16 v11, v11, s14, v14
	v_or_b32_e32 v9, v13, v9
	v_add_f16_e32 v14, v21, v17
	v_sub_f16_e32 v26, v18, v11
	v_add_f16_e32 v15, v11, v18
	v_sub_f16_e32 v11, v17, v21
	v_lshl_add_u32 v18, v9, 1, 0
	ds_write_b16 v18, v7
	ds_write_b16 v18, v14 offset:64
	ds_write_b16 v18, v25 offset:128
	ds_write_b16 v18, v27 offset:192
	ds_write_b16 v18, v12 offset:256
	ds_write_b16 v18, v10 offset:320
	ds_write_b16 v18, v11 offset:384
	s_waitcnt lgkmcnt(0)
	s_barrier
	ds_read_u16 v7, v0
	ds_read_u16 v10, v0 offset:448
	ds_read_u16 v9, v0 offset:896
	;; [unrolled: 1-line block ×6, first 2 shown]
	v_sub_f16_e32 v16, v19, v20
	v_add_f16_e32 v17, v20, v19
	s_waitcnt lgkmcnt(0)
	s_barrier
	ds_write_b16 v18, v23
	ds_write_b16 v18, v16 offset:64
	ds_write_b16 v18, v26 offset:128
	ds_write_b16 v18, v28 offset:192
	ds_write_b16 v18, v22 offset:256
	ds_write_b16 v18, v15 offset:320
	ds_write_b16 v18, v17 offset:384
	s_waitcnt lgkmcnt(0)
	s_barrier
	s_and_saveexec_b64 s[16:17], s[0:1]
	s_cbranch_execz .LBB0_53
; %bb.52:
	v_mul_u32_u24_e32 v8, 6, v8
	v_lshlrev_b32_e32 v8, 2, v8
	global_load_dwordx4 v[15:18], v8, s[12:13] offset:888
	global_load_dwordx2 v[19:20], v8, s[12:13] offset:904
	v_mul_lo_u32 v8, s3, v3
	v_mul_lo_u32 v21, s2, v4
	v_mad_u64_u32 v[3:4], s[0:1], s2, v3, 0
	ds_read_u16 v6, v6 offset:1344
	ds_read_u16 v22, v0 offset:2688
	ds_read_u16 v23, v0 offset:2240
	ds_read_u16 v24, v0 offset:1792
	ds_read_u16 v25, v0 offset:896
	ds_read_u16 v26, v0 offset:448
	ds_read_u16 v0, v0
	v_add3_u32 v4, v4, v21, v8
	v_lshlrev_b64 v[3:4], 2, v[3:4]
	v_add_co_u32_e32 v3, vcc, s10, v3
	s_waitcnt vmcnt(1)
	v_lshrrev_b32_e32 v8, 16, v15
	v_lshrrev_b32_e32 v21, 16, v16
	;; [unrolled: 1-line block ×4, first 2 shown]
	v_mul_f16_e32 v29, v10, v15
	s_waitcnt vmcnt(0)
	v_lshrrev_b32_e32 v30, 16, v19
	v_lshrrev_b32_e32 v31, 16, v20
	v_mul_f16_e32 v32, v14, v20
	v_mul_f16_e32 v33, v11, v18
	;; [unrolled: 1-line block ×5, first 2 shown]
	s_waitcnt lgkmcnt(1)
	v_fma_f16 v29, v26, v8, v29
	v_fma_f16 v32, v22, v31, v32
	;; [unrolled: 1-line block ×6, first 2 shown]
	v_mul_f16_e32 v14, v14, v31
	v_mul_f16_e32 v8, v10, v8
	;; [unrolled: 1-line block ×6, first 2 shown]
	v_sub_f16_e32 v13, v29, v32
	v_sub_f16_e32 v21, v33, v34
	;; [unrolled: 1-line block ×3, first 2 shown]
	v_fma_f16 v14, v22, v20, -v14
	v_fma_f16 v8, v26, v15, -v8
	;; [unrolled: 1-line block ×6, first 2 shown]
	v_add_f16_e32 v12, v29, v32
	v_add_f16_e32 v16, v35, v36
	;; [unrolled: 1-line block ×3, first 2 shown]
	v_sub_f16_e32 v17, v13, v21
	v_sub_f16_e32 v18, v21, v27
	v_add_f16_e32 v19, v21, v27
	v_add_f16_e32 v20, v8, v14
	;; [unrolled: 1-line block ×5, first 2 shown]
	v_sub_f16_e32 v8, v8, v14
	v_sub_f16_e32 v6, v10, v6
	;; [unrolled: 1-line block ×5, first 2 shown]
	v_add_f16_e32 v15, v15, v25
	v_sub_f16_e32 v25, v8, v6
	v_sub_f16_e32 v28, v6, v9
	v_add_f16_e32 v6, v6, v9
	v_mul_f16_e32 v10, 0x3846, v18
	v_add_f16_e32 v11, v13, v19
	v_add_f16_e32 v19, v20, v22
	v_mul_f16_e32 v24, 0x2b26, v24
	v_add_f16_e32 v6, v8, v6
	v_sub_f16_e32 v8, v9, v8
	v_sub_f16_e32 v14, v20, v21
	;; [unrolled: 1-line block ×3, first 2 shown]
	v_mul_f16_e32 v26, 0x3a52, v23
	v_fma_f16 v29, v17, s15, v10
	v_add_f16_e32 v19, v21, v19
	v_fma_f16 v21, v23, s6, v24
	v_add_f16_e32 v7, v7, v15
	v_mul_f16_e32 v23, 0x3846, v28
	v_mul_f16_e32 v9, 0xbb00, v8
	v_fma_f16 v28, v11, s14, v29
	s_waitcnt lgkmcnt(0)
	v_add_f16_e32 v29, v0, v19
	v_fma_f16 v0, v15, s7, v7
	v_fma_f16 v15, v25, s15, v23
	v_sub_f16_e32 v12, v16, v12
	v_fma_f16 v9, v25, s9, -v9
	v_fma_f16 v8, v8, s4, -v23
	v_fma_f16 v15, v6, s14, v15
	v_fma_f16 v16, v12, s8, -v26
	v_fma_f16 v9, v6, s14, v9
	v_fma_f16 v6, v6, s14, v8
	v_fma_f16 v8, v12, s5, -v24
	v_add_f16_e32 v21, v21, v0
	v_add_f16_e32 v16, v16, v0
	;; [unrolled: 1-line block ×4, first 2 shown]
	v_sub_f16_e32 v12, v0, v6
	v_mov_b32_e32 v0, s11
	v_addc_co_u32_e32 v4, vcc, v0, v4, vcc
	v_lshlrev_b64 v[0:1], 2, v[1:2]
	v_mov_b32_e32 v6, 0
	v_add_co_u32_e32 v2, vcc, v3, v0
	v_mul_f16_e32 v18, 0x2b26, v18
	v_sub_f16_e32 v13, v27, v13
	v_addc_co_u32_e32 v3, vcc, v4, v1, vcc
	v_lshlrev_b64 v[0:1], 2, v[5:6]
	v_mul_f16_e32 v30, 0x3a52, v14
	v_fma_f16 v14, v14, s6, v18
	v_fma_f16 v19, v19, s7, v29
	v_mul_f16_e32 v27, 0xbb00, v13
	v_sub_f16_e32 v20, v22, v20
	v_add_f16_e32 v14, v14, v19
	v_fma_f16 v17, v17, s9, -v27
	v_fma_f16 v22, v20, s8, -v30
	v_add_co_u32_e32 v0, vcc, v2, v0
	v_add_f16_e32 v31, v28, v14
	v_sub_f16_e32 v32, v21, v15
	v_fma_f16 v17, v11, s14, v17
	v_add_f16_e32 v22, v22, v19
	v_fma_f16 v18, v20, s5, -v18
	v_fma_f16 v10, v13, s4, -v10
	v_sub_f16_e32 v14, v14, v28
	v_add_f16_e32 v15, v15, v21
	v_addc_co_u32_e32 v1, vcc, v3, v1, vcc
	v_pack_b32_f16 v2, v7, v29
	v_sub_f16_e32 v25, v16, v9
	v_add_f16_e32 v18, v18, v19
	v_fma_f16 v10, v11, s14, v10
	v_sub_f16_e32 v13, v22, v17
	v_add_f16_e32 v9, v9, v16
	global_store_dword v[0:1], v2, off
	v_pack_b32_f16 v2, v15, v14
	v_sub_f16_e32 v11, v18, v10
	v_add_f16_e32 v10, v10, v18
	global_store_dword v[0:1], v2, off offset:896
	v_pack_b32_f16 v2, v9, v13
	global_store_dword v[0:1], v2, off offset:1792
	v_pack_b32_f16 v2, v12, v10
	;; [unrolled: 2-line block ×3, first 2 shown]
	v_add_f16_e32 v27, v17, v22
	global_store_dword v[0:1], v2, off offset:3584
	v_add_co_u32_e32 v0, vcc, 0x1000, v0
	v_pack_b32_f16 v2, v25, v27
	v_addc_co_u32_e32 v1, vcc, 0, v1, vcc
	global_store_dword v[0:1], v2, off offset:384
	v_pack_b32_f16 v2, v32, v31
	global_store_dword v[0:1], v2, off offset:1280
.LBB0_53:
	s_endpgm
	.section	.rodata,"a",@progbits
	.p2align	6, 0x0
	.amdhsa_kernel fft_rtc_back_len1568_factors_2_2_2_2_2_7_7_wgs_224_tpt_224_halfLds_half_op_CI_CI_unitstride_sbrr_dirReg
		.amdhsa_group_segment_fixed_size 0
		.amdhsa_private_segment_fixed_size 0
		.amdhsa_kernarg_size 104
		.amdhsa_user_sgpr_count 6
		.amdhsa_user_sgpr_private_segment_buffer 1
		.amdhsa_user_sgpr_dispatch_ptr 0
		.amdhsa_user_sgpr_queue_ptr 0
		.amdhsa_user_sgpr_kernarg_segment_ptr 1
		.amdhsa_user_sgpr_dispatch_id 0
		.amdhsa_user_sgpr_flat_scratch_init 0
		.amdhsa_user_sgpr_private_segment_size 0
		.amdhsa_uses_dynamic_stack 0
		.amdhsa_system_sgpr_private_segment_wavefront_offset 0
		.amdhsa_system_sgpr_workgroup_id_x 1
		.amdhsa_system_sgpr_workgroup_id_y 0
		.amdhsa_system_sgpr_workgroup_id_z 0
		.amdhsa_system_sgpr_workgroup_info 0
		.amdhsa_system_vgpr_workitem_id 0
		.amdhsa_next_free_vgpr 41
		.amdhsa_next_free_sgpr 28
		.amdhsa_reserve_vcc 1
		.amdhsa_reserve_flat_scratch 0
		.amdhsa_float_round_mode_32 0
		.amdhsa_float_round_mode_16_64 0
		.amdhsa_float_denorm_mode_32 3
		.amdhsa_float_denorm_mode_16_64 3
		.amdhsa_dx10_clamp 1
		.amdhsa_ieee_mode 1
		.amdhsa_fp16_overflow 0
		.amdhsa_exception_fp_ieee_invalid_op 0
		.amdhsa_exception_fp_denorm_src 0
		.amdhsa_exception_fp_ieee_div_zero 0
		.amdhsa_exception_fp_ieee_overflow 0
		.amdhsa_exception_fp_ieee_underflow 0
		.amdhsa_exception_fp_ieee_inexact 0
		.amdhsa_exception_int_div_zero 0
	.end_amdhsa_kernel
	.text
.Lfunc_end0:
	.size	fft_rtc_back_len1568_factors_2_2_2_2_2_7_7_wgs_224_tpt_224_halfLds_half_op_CI_CI_unitstride_sbrr_dirReg, .Lfunc_end0-fft_rtc_back_len1568_factors_2_2_2_2_2_7_7_wgs_224_tpt_224_halfLds_half_op_CI_CI_unitstride_sbrr_dirReg
                                        ; -- End function
	.section	.AMDGPU.csdata,"",@progbits
; Kernel info:
; codeLenInByte = 6496
; NumSgprs: 32
; NumVgprs: 41
; ScratchSize: 0
; MemoryBound: 0
; FloatMode: 240
; IeeeMode: 1
; LDSByteSize: 0 bytes/workgroup (compile time only)
; SGPRBlocks: 3
; VGPRBlocks: 10
; NumSGPRsForWavesPerEU: 32
; NumVGPRsForWavesPerEU: 41
; Occupancy: 5
; WaveLimiterHint : 1
; COMPUTE_PGM_RSRC2:SCRATCH_EN: 0
; COMPUTE_PGM_RSRC2:USER_SGPR: 6
; COMPUTE_PGM_RSRC2:TRAP_HANDLER: 0
; COMPUTE_PGM_RSRC2:TGID_X_EN: 1
; COMPUTE_PGM_RSRC2:TGID_Y_EN: 0
; COMPUTE_PGM_RSRC2:TGID_Z_EN: 0
; COMPUTE_PGM_RSRC2:TIDIG_COMP_CNT: 0
	.type	__hip_cuid_c99e3a94e39bde1,@object ; @__hip_cuid_c99e3a94e39bde1
	.section	.bss,"aw",@nobits
	.globl	__hip_cuid_c99e3a94e39bde1
__hip_cuid_c99e3a94e39bde1:
	.byte	0                               ; 0x0
	.size	__hip_cuid_c99e3a94e39bde1, 1

	.ident	"AMD clang version 19.0.0git (https://github.com/RadeonOpenCompute/llvm-project roc-6.4.0 25133 c7fe45cf4b819c5991fe208aaa96edf142730f1d)"
	.section	".note.GNU-stack","",@progbits
	.addrsig
	.addrsig_sym __hip_cuid_c99e3a94e39bde1
	.amdgpu_metadata
---
amdhsa.kernels:
  - .args:
      - .actual_access:  read_only
        .address_space:  global
        .offset:         0
        .size:           8
        .value_kind:     global_buffer
      - .offset:         8
        .size:           8
        .value_kind:     by_value
      - .actual_access:  read_only
        .address_space:  global
        .offset:         16
        .size:           8
        .value_kind:     global_buffer
      - .actual_access:  read_only
        .address_space:  global
        .offset:         24
        .size:           8
        .value_kind:     global_buffer
      - .actual_access:  read_only
        .address_space:  global
        .offset:         32
        .size:           8
        .value_kind:     global_buffer
      - .offset:         40
        .size:           8
        .value_kind:     by_value
      - .actual_access:  read_only
        .address_space:  global
        .offset:         48
        .size:           8
        .value_kind:     global_buffer
      - .actual_access:  read_only
        .address_space:  global
        .offset:         56
        .size:           8
        .value_kind:     global_buffer
      - .offset:         64
        .size:           4
        .value_kind:     by_value
      - .actual_access:  read_only
        .address_space:  global
        .offset:         72
        .size:           8
        .value_kind:     global_buffer
      - .actual_access:  read_only
        .address_space:  global
        .offset:         80
        .size:           8
        .value_kind:     global_buffer
      - .actual_access:  read_only
        .address_space:  global
        .offset:         88
        .size:           8
        .value_kind:     global_buffer
      - .actual_access:  write_only
        .address_space:  global
        .offset:         96
        .size:           8
        .value_kind:     global_buffer
    .group_segment_fixed_size: 0
    .kernarg_segment_align: 8
    .kernarg_segment_size: 104
    .language:       OpenCL C
    .language_version:
      - 2
      - 0
    .max_flat_workgroup_size: 224
    .name:           fft_rtc_back_len1568_factors_2_2_2_2_2_7_7_wgs_224_tpt_224_halfLds_half_op_CI_CI_unitstride_sbrr_dirReg
    .private_segment_fixed_size: 0
    .sgpr_count:     32
    .sgpr_spill_count: 0
    .symbol:         fft_rtc_back_len1568_factors_2_2_2_2_2_7_7_wgs_224_tpt_224_halfLds_half_op_CI_CI_unitstride_sbrr_dirReg.kd
    .uniform_work_group_size: 1
    .uses_dynamic_stack: false
    .vgpr_count:     41
    .vgpr_spill_count: 0
    .wavefront_size: 64
amdhsa.target:   amdgcn-amd-amdhsa--gfx906
amdhsa.version:
  - 1
  - 2
...

	.end_amdgpu_metadata
